;; amdgpu-corpus repo=ROCm/rocFFT kind=compiled arch=gfx906 opt=O3
	.text
	.amdgcn_target "amdgcn-amd-amdhsa--gfx906"
	.amdhsa_code_object_version 6
	.protected	fft_rtc_fwd_len1050_factors_2_3_5_5_7_wgs_210_tpt_210_dp_op_CI_CI_unitstride_sbrr_R2C_dirReg ; -- Begin function fft_rtc_fwd_len1050_factors_2_3_5_5_7_wgs_210_tpt_210_dp_op_CI_CI_unitstride_sbrr_R2C_dirReg
	.globl	fft_rtc_fwd_len1050_factors_2_3_5_5_7_wgs_210_tpt_210_dp_op_CI_CI_unitstride_sbrr_R2C_dirReg
	.p2align	8
	.type	fft_rtc_fwd_len1050_factors_2_3_5_5_7_wgs_210_tpt_210_dp_op_CI_CI_unitstride_sbrr_R2C_dirReg,@function
fft_rtc_fwd_len1050_factors_2_3_5_5_7_wgs_210_tpt_210_dp_op_CI_CI_unitstride_sbrr_R2C_dirReg: ; @fft_rtc_fwd_len1050_factors_2_3_5_5_7_wgs_210_tpt_210_dp_op_CI_CI_unitstride_sbrr_R2C_dirReg
; %bb.0:
	s_load_dwordx4 s[8:11], s[4:5], 0x58
	s_load_dwordx4 s[12:15], s[4:5], 0x0
	;; [unrolled: 1-line block ×3, first 2 shown]
	v_mul_u32_u24_e32 v1, 0x139, v0
	v_add_u32_sdwa v5, s6, v1 dst_sel:DWORD dst_unused:UNUSED_PAD src0_sel:DWORD src1_sel:WORD_1
	v_mov_b32_e32 v3, 0
	s_waitcnt lgkmcnt(0)
	v_cmp_lt_u64_e64 s[0:1], s[14:15], 2
	v_mov_b32_e32 v1, 0
	v_mov_b32_e32 v6, v3
	s_and_b64 vcc, exec, s[0:1]
	v_mov_b32_e32 v2, 0
	s_cbranch_vccnz .LBB0_8
; %bb.1:
	s_load_dwordx2 s[0:1], s[4:5], 0x10
	s_add_u32 s2, s18, 8
	s_addc_u32 s3, s19, 0
	s_add_u32 s6, s16, 8
	v_mov_b32_e32 v1, 0
	s_addc_u32 s7, s17, 0
	v_mov_b32_e32 v2, 0
	s_waitcnt lgkmcnt(0)
	s_add_u32 s20, s0, 8
	v_mov_b32_e32 v29, v2
	s_addc_u32 s21, s1, 0
	s_mov_b64 s[22:23], 1
	v_mov_b32_e32 v28, v1
.LBB0_2:                                ; =>This Inner Loop Header: Depth=1
	s_load_dwordx2 s[24:25], s[20:21], 0x0
                                        ; implicit-def: $vgpr30_vgpr31
	s_waitcnt lgkmcnt(0)
	v_or_b32_e32 v4, s25, v6
	v_cmp_ne_u64_e32 vcc, 0, v[3:4]
	s_and_saveexec_b64 s[0:1], vcc
	s_xor_b64 s[26:27], exec, s[0:1]
	s_cbranch_execz .LBB0_4
; %bb.3:                                ;   in Loop: Header=BB0_2 Depth=1
	v_cvt_f32_u32_e32 v4, s24
	v_cvt_f32_u32_e32 v7, s25
	s_sub_u32 s0, 0, s24
	s_subb_u32 s1, 0, s25
	v_mac_f32_e32 v4, 0x4f800000, v7
	v_rcp_f32_e32 v4, v4
	v_mul_f32_e32 v4, 0x5f7ffffc, v4
	v_mul_f32_e32 v7, 0x2f800000, v4
	v_trunc_f32_e32 v7, v7
	v_mac_f32_e32 v4, 0xcf800000, v7
	v_cvt_u32_f32_e32 v7, v7
	v_cvt_u32_f32_e32 v4, v4
	v_mul_lo_u32 v8, s0, v7
	v_mul_hi_u32 v9, s0, v4
	v_mul_lo_u32 v11, s1, v4
	v_mul_lo_u32 v10, s0, v4
	v_add_u32_e32 v8, v9, v8
	v_add_u32_e32 v8, v8, v11
	v_mul_hi_u32 v9, v4, v10
	v_mul_lo_u32 v11, v4, v8
	v_mul_hi_u32 v13, v4, v8
	v_mul_hi_u32 v12, v7, v10
	v_mul_lo_u32 v10, v7, v10
	v_mul_hi_u32 v14, v7, v8
	v_add_co_u32_e32 v9, vcc, v9, v11
	v_addc_co_u32_e32 v11, vcc, 0, v13, vcc
	v_mul_lo_u32 v8, v7, v8
	v_add_co_u32_e32 v9, vcc, v9, v10
	v_addc_co_u32_e32 v9, vcc, v11, v12, vcc
	v_addc_co_u32_e32 v10, vcc, 0, v14, vcc
	v_add_co_u32_e32 v8, vcc, v9, v8
	v_addc_co_u32_e32 v9, vcc, 0, v10, vcc
	v_add_co_u32_e32 v4, vcc, v4, v8
	v_addc_co_u32_e32 v7, vcc, v7, v9, vcc
	v_mul_lo_u32 v8, s0, v7
	v_mul_hi_u32 v9, s0, v4
	v_mul_lo_u32 v10, s1, v4
	v_mul_lo_u32 v11, s0, v4
	v_add_u32_e32 v8, v9, v8
	v_add_u32_e32 v8, v8, v10
	v_mul_lo_u32 v12, v4, v8
	v_mul_hi_u32 v13, v4, v11
	v_mul_hi_u32 v14, v4, v8
	v_mul_hi_u32 v10, v7, v11
	v_mul_lo_u32 v11, v7, v11
	v_mul_hi_u32 v9, v7, v8
	v_add_co_u32_e32 v12, vcc, v13, v12
	v_addc_co_u32_e32 v13, vcc, 0, v14, vcc
	v_mul_lo_u32 v8, v7, v8
	v_add_co_u32_e32 v11, vcc, v12, v11
	v_addc_co_u32_e32 v10, vcc, v13, v10, vcc
	v_addc_co_u32_e32 v9, vcc, 0, v9, vcc
	v_add_co_u32_e32 v8, vcc, v10, v8
	v_addc_co_u32_e32 v9, vcc, 0, v9, vcc
	v_add_co_u32_e32 v4, vcc, v4, v8
	v_addc_co_u32_e32 v9, vcc, v7, v9, vcc
	v_mad_u64_u32 v[7:8], s[0:1], v5, v9, 0
	v_mul_hi_u32 v10, v5, v4
	v_add_co_u32_e32 v11, vcc, v10, v7
	v_addc_co_u32_e32 v12, vcc, 0, v8, vcc
	v_mad_u64_u32 v[7:8], s[0:1], v6, v4, 0
	v_mad_u64_u32 v[9:10], s[0:1], v6, v9, 0
	v_add_co_u32_e32 v4, vcc, v11, v7
	v_addc_co_u32_e32 v4, vcc, v12, v8, vcc
	v_addc_co_u32_e32 v7, vcc, 0, v10, vcc
	v_add_co_u32_e32 v4, vcc, v4, v9
	v_addc_co_u32_e32 v9, vcc, 0, v7, vcc
	v_mul_lo_u32 v10, s25, v4
	v_mul_lo_u32 v11, s24, v9
	v_mad_u64_u32 v[7:8], s[0:1], s24, v4, 0
	v_add3_u32 v8, v8, v11, v10
	v_sub_u32_e32 v10, v6, v8
	v_mov_b32_e32 v11, s25
	v_sub_co_u32_e32 v7, vcc, v5, v7
	v_subb_co_u32_e64 v10, s[0:1], v10, v11, vcc
	v_subrev_co_u32_e64 v11, s[0:1], s24, v7
	v_subbrev_co_u32_e64 v10, s[0:1], 0, v10, s[0:1]
	v_cmp_le_u32_e64 s[0:1], s25, v10
	v_cndmask_b32_e64 v12, 0, -1, s[0:1]
	v_cmp_le_u32_e64 s[0:1], s24, v11
	v_cndmask_b32_e64 v11, 0, -1, s[0:1]
	v_cmp_eq_u32_e64 s[0:1], s25, v10
	v_cndmask_b32_e64 v10, v12, v11, s[0:1]
	v_add_co_u32_e64 v11, s[0:1], 2, v4
	v_addc_co_u32_e64 v12, s[0:1], 0, v9, s[0:1]
	v_add_co_u32_e64 v13, s[0:1], 1, v4
	v_addc_co_u32_e64 v14, s[0:1], 0, v9, s[0:1]
	v_subb_co_u32_e32 v8, vcc, v6, v8, vcc
	v_cmp_ne_u32_e64 s[0:1], 0, v10
	v_cmp_le_u32_e32 vcc, s25, v8
	v_cndmask_b32_e64 v10, v14, v12, s[0:1]
	v_cndmask_b32_e64 v12, 0, -1, vcc
	v_cmp_le_u32_e32 vcc, s24, v7
	v_cndmask_b32_e64 v7, 0, -1, vcc
	v_cmp_eq_u32_e32 vcc, s25, v8
	v_cndmask_b32_e32 v7, v12, v7, vcc
	v_cmp_ne_u32_e32 vcc, 0, v7
	v_cndmask_b32_e64 v7, v13, v11, s[0:1]
	v_cndmask_b32_e32 v31, v9, v10, vcc
	v_cndmask_b32_e32 v30, v4, v7, vcc
.LBB0_4:                                ;   in Loop: Header=BB0_2 Depth=1
	s_andn2_saveexec_b64 s[0:1], s[26:27]
	s_cbranch_execz .LBB0_6
; %bb.5:                                ;   in Loop: Header=BB0_2 Depth=1
	v_cvt_f32_u32_e32 v4, s24
	s_sub_i32 s26, 0, s24
	v_mov_b32_e32 v31, v3
	v_rcp_iflag_f32_e32 v4, v4
	v_mul_f32_e32 v4, 0x4f7ffffe, v4
	v_cvt_u32_f32_e32 v4, v4
	v_mul_lo_u32 v7, s26, v4
	v_mul_hi_u32 v7, v4, v7
	v_add_u32_e32 v4, v4, v7
	v_mul_hi_u32 v4, v5, v4
	v_mul_lo_u32 v7, v4, s24
	v_add_u32_e32 v8, 1, v4
	v_sub_u32_e32 v7, v5, v7
	v_subrev_u32_e32 v9, s24, v7
	v_cmp_le_u32_e32 vcc, s24, v7
	v_cndmask_b32_e32 v7, v7, v9, vcc
	v_cndmask_b32_e32 v4, v4, v8, vcc
	v_add_u32_e32 v8, 1, v4
	v_cmp_le_u32_e32 vcc, s24, v7
	v_cndmask_b32_e32 v30, v4, v8, vcc
.LBB0_6:                                ;   in Loop: Header=BB0_2 Depth=1
	s_or_b64 exec, exec, s[0:1]
	v_mul_lo_u32 v4, v31, s24
	v_mul_lo_u32 v9, v30, s25
	v_mad_u64_u32 v[7:8], s[0:1], v30, s24, 0
	s_load_dwordx2 s[0:1], s[6:7], 0x0
	s_load_dwordx2 s[24:25], s[2:3], 0x0
	v_add3_u32 v4, v8, v9, v4
	v_sub_co_u32_e32 v5, vcc, v5, v7
	v_subb_co_u32_e32 v4, vcc, v6, v4, vcc
	s_waitcnt lgkmcnt(0)
	v_mul_lo_u32 v6, s0, v4
	v_mul_lo_u32 v7, s1, v5
	v_mad_u64_u32 v[1:2], s[0:1], s0, v5, v[1:2]
	v_mul_lo_u32 v4, s24, v4
	v_mul_lo_u32 v8, s25, v5
	v_mad_u64_u32 v[28:29], s[0:1], s24, v5, v[28:29]
	s_add_u32 s22, s22, 1
	s_addc_u32 s23, s23, 0
	s_add_u32 s2, s2, 8
	v_add3_u32 v29, v8, v29, v4
	s_addc_u32 s3, s3, 0
	v_mov_b32_e32 v4, s14
	s_add_u32 s6, s6, 8
	v_mov_b32_e32 v5, s15
	s_addc_u32 s7, s7, 0
	v_cmp_ge_u64_e32 vcc, s[22:23], v[4:5]
	s_add_u32 s20, s20, 8
	v_add3_u32 v2, v7, v2, v6
	s_addc_u32 s21, s21, 0
	s_cbranch_vccnz .LBB0_9
; %bb.7:                                ;   in Loop: Header=BB0_2 Depth=1
	v_mov_b32_e32 v5, v30
	v_mov_b32_e32 v6, v31
	s_branch .LBB0_2
.LBB0_8:
	v_mov_b32_e32 v29, v2
	v_mov_b32_e32 v31, v6
	;; [unrolled: 1-line block ×4, first 2 shown]
.LBB0_9:
	s_load_dwordx2 s[4:5], s[4:5], 0x28
	s_lshl_b64 s[6:7], s[14:15], 3
	s_add_u32 s2, s18, s6
	s_addc_u32 s3, s19, s7
                                        ; implicit-def: $vgpr32
                                        ; implicit-def: $vgpr35
                                        ; implicit-def: $vgpr34
	s_waitcnt lgkmcnt(0)
	v_cmp_gt_u64_e64 s[0:1], s[4:5], v[30:31]
	v_cmp_le_u64_e32 vcc, s[4:5], v[30:31]
	s_and_saveexec_b64 s[4:5], vcc
	s_xor_b64 s[4:5], exec, s[4:5]
; %bb.10:
	s_mov_b32 s14, 0x1381382
	v_mul_hi_u32 v1, v0, s14
	v_mul_u32_u24_e32 v1, 0xd2, v1
	v_sub_u32_e32 v32, v0, v1
	v_add_u32_e32 v35, 0xd2, v32
	v_add_u32_e32 v34, 0x1a4, v32
                                        ; implicit-def: $vgpr0
                                        ; implicit-def: $vgpr1_vgpr2
; %bb.11:
	s_andn2_saveexec_b64 s[4:5], s[4:5]
	s_cbranch_execz .LBB0_13
; %bb.12:
	s_add_u32 s6, s16, s6
	s_addc_u32 s7, s17, s7
	s_load_dwordx2 s[6:7], s[6:7], 0x0
	s_mov_b32 s14, 0x1381382
	v_mul_hi_u32 v5, v0, s14
	s_waitcnt lgkmcnt(0)
	v_mul_lo_u32 v6, s7, v30
	v_mul_lo_u32 v7, s6, v31
	v_mad_u64_u32 v[3:4], s[6:7], s6, v30, 0
	v_mul_u32_u24_e32 v5, 0xd2, v5
	v_sub_u32_e32 v32, v0, v5
	v_add3_u32 v4, v4, v7, v6
	v_lshlrev_b64 v[3:4], 4, v[3:4]
	v_mov_b32_e32 v0, s9
	v_add_co_u32_e32 v3, vcc, s8, v3
	v_addc_co_u32_e32 v4, vcc, v0, v4, vcc
	v_lshlrev_b64 v[0:1], 4, v[1:2]
	v_lshlrev_b32_e32 v24, 4, v32
	v_add_co_u32_e32 v0, vcc, v3, v0
	v_addc_co_u32_e32 v1, vcc, v4, v1, vcc
	v_add_co_u32_e32 v12, vcc, v0, v24
	v_addc_co_u32_e32 v13, vcc, 0, v1, vcc
	s_movk_i32 s6, 0x1000
	v_add_co_u32_e32 v14, vcc, s6, v12
	v_addc_co_u32_e32 v15, vcc, 0, v13, vcc
	v_add_co_u32_e32 v20, vcc, 0x2000, v12
	v_addc_co_u32_e32 v21, vcc, 0, v13, vcc
	v_add_co_u32_e32 v22, vcc, 0x3000, v12
	global_load_dwordx4 v[0:3], v[12:13], off
	global_load_dwordx4 v[4:7], v[12:13], off offset:3360
	global_load_dwordx4 v[8:11], v[14:15], off offset:2624
	v_addc_co_u32_e32 v23, vcc, 0, v13, vcc
	global_load_dwordx4 v[12:15], v[20:21], off offset:1888
	global_load_dwordx4 v[16:19], v[22:23], off offset:1152
	v_add_u32_e32 v35, 0xd2, v32
	v_add_u32_e32 v20, 0, v24
	;; [unrolled: 1-line block ×3, first 2 shown]
	s_waitcnt vmcnt(4)
	ds_write_b128 v20, v[0:3]
	s_waitcnt vmcnt(3)
	ds_write_b128 v20, v[4:7] offset:3360
	s_waitcnt vmcnt(2)
	ds_write_b128 v20, v[8:11] offset:6720
	;; [unrolled: 2-line block ×4, first 2 shown]
.LBB0_13:
	s_or_b64 exec, exec, s[4:5]
	v_lshlrev_b32_e32 v33, 4, v32
	v_add_u32_e32 v37, 0, v33
	s_load_dwordx2 s[4:5], s[2:3], 0x0
	s_waitcnt lgkmcnt(0)
	s_barrier
	ds_read_b128 v[0:3], v37 offset:8400
	ds_read_b128 v[8:11], v37
	ds_read_b128 v[12:15], v37 offset:3360
	ds_read_b128 v[16:19], v37 offset:6720
	s_movk_i32 s2, 0x69
	v_cmp_gt_u32_e32 vcc, s2, v32
	s_waitcnt lgkmcnt(2)
	v_add_f64 v[20:21], v[8:9], -v[0:1]
	v_add_f64 v[22:23], v[10:11], -v[2:3]
	ds_read_b128 v[0:3], v37 offset:11760
	ds_read_b128 v[24:27], v37 offset:15120
	s_waitcnt lgkmcnt(0)
	s_barrier
	v_add_f64 v[4:5], v[12:13], -v[0:1]
	v_add_f64 v[6:7], v[14:15], -v[2:3]
	v_fma_f64 v[38:39], v[8:9], 2.0, -v[20:21]
	v_fma_f64 v[40:41], v[10:11], 2.0, -v[22:23]
	v_add_f64 v[8:9], v[16:17], -v[24:25]
	v_add_f64 v[10:11], v[18:19], -v[26:27]
	v_add_u32_e32 v24, v37, v33
	ds_write_b128 v24, v[20:23] offset:16
	ds_write_b128 v24, v[38:41]
	v_fma_f64 v[12:13], v[12:13], 2.0, -v[4:5]
	v_fma_f64 v[14:15], v[14:15], 2.0, -v[6:7]
	;; [unrolled: 1-line block ×4, first 2 shown]
	v_lshl_add_u32 v38, v35, 5, 0
	ds_write_b128 v38, v[12:15]
	ds_write_b128 v38, v[4:7] offset:16
	s_and_saveexec_b64 s[2:3], vcc
	s_cbranch_execz .LBB0_15
; %bb.14:
	v_lshl_add_u32 v12, v34, 5, 0
	ds_write_b128 v12, v[0:3]
	ds_write_b128 v12, v[8:11] offset:16
.LBB0_15:
	s_or_b64 exec, exec, s[2:3]
	s_waitcnt lgkmcnt(0)
	s_barrier
	ds_read_b128 v[12:15], v37
	ds_read_b128 v[20:23], v37 offset:5600
	ds_read_b128 v[16:19], v37 offset:11200
	s_movk_i32 s2, 0x8c
	v_cmp_gt_u32_e64 s[2:3], s2, v32
	v_lshlrev_b32_e32 v36, 4, v35
	s_and_saveexec_b64 s[6:7], s[2:3]
	s_cbranch_execz .LBB0_17
; %bb.16:
	v_sub_u32_e32 v0, v38, v36
	ds_read_b128 v[4:7], v0
	ds_read_b128 v[0:3], v37 offset:8960
	ds_read_b128 v[8:11], v37 offset:14560
.LBB0_17:
	s_or_b64 exec, exec, s[6:7]
	v_and_b32_e32 v24, 1, v32
	v_lshlrev_b32_e32 v25, 5, v24
	global_load_dwordx4 v[39:42], v25, s[12:13]
	global_load_dwordx4 v[43:46], v25, s[12:13] offset:16
	s_mov_b32 s6, 0xe8584caa
	s_mov_b32 s7, 0x3febb67a
	;; [unrolled: 1-line block ×4, first 2 shown]
	v_lshrrev_b32_e32 v27, 1, v32
	v_mul_u32_u24_e32 v27, 6, v27
	s_waitcnt vmcnt(0) lgkmcnt(0)
	s_barrier
	v_mul_f64 v[25:26], v[22:23], v[41:42]
	v_mul_f64 v[47:48], v[20:21], v[41:42]
	;; [unrolled: 1-line block ×8, first 2 shown]
	v_fma_f64 v[20:21], v[20:21], v[39:40], -v[25:26]
	v_fma_f64 v[22:23], v[22:23], v[39:40], v[47:48]
	v_fma_f64 v[25:26], v[16:17], v[43:44], -v[49:50]
	v_fma_f64 v[47:48], v[18:19], v[43:44], v[51:52]
	;; [unrolled: 2-line block ×4, first 2 shown]
	v_add_f64 v[39:40], v[12:13], v[20:21]
	v_add_f64 v[41:42], v[14:15], v[22:23]
	;; [unrolled: 1-line block ×4, first 2 shown]
	v_add_f64 v[49:50], v[22:23], -v[47:48]
	v_add_f64 v[51:52], v[20:21], -v[25:26]
	v_add_f64 v[43:44], v[16:17], v[8:9]
	v_add_f64 v[45:46], v[18:19], v[10:11]
	v_add_f64 v[20:21], v[18:19], -v[10:11]
	v_add_f64 v[22:23], v[16:17], -v[8:9]
	v_fma_f64 v[0:1], v[0:1], -0.5, v[12:13]
	v_fma_f64 v[2:3], v[2:3], -0.5, v[14:15]
	v_add_f64 v[39:40], v[39:40], v[25:26]
	v_add_f64 v[41:42], v[41:42], v[47:48]
	v_fma_f64 v[12:13], v[43:44], -0.5, v[4:5]
	v_fma_f64 v[14:15], v[45:46], -0.5, v[6:7]
	v_or_b32_e32 v25, v27, v24
	v_lshl_add_u32 v25, v25, 4, 0
	v_fma_f64 v[43:44], v[49:50], s[6:7], v[0:1]
	v_fma_f64 v[47:48], v[49:50], s[8:9], v[0:1]
	;; [unrolled: 1-line block ×6, first 2 shown]
	ds_write_b128 v25, v[39:42]
	ds_write_b128 v25, v[43:46] offset:32
	ds_write_b128 v25, v[47:50] offset:64
	s_and_saveexec_b64 s[8:9], s[2:3]
	s_cbranch_execz .LBB0_19
; %bb.18:
	v_add_f64 v[18:19], v[6:7], v[18:19]
	v_add_f64 v[4:5], v[4:5], v[16:17]
	v_mul_f64 v[22:23], v[22:23], s[6:7]
	v_mul_f64 v[16:17], v[20:21], s[6:7]
	v_lshrrev_b32_e32 v20, 1, v35
	v_add_f64 v[10:11], v[18:19], v[10:11]
	v_add_f64 v[8:9], v[4:5], v[8:9]
	v_add_f64 v[6:7], v[14:15], -v[22:23]
	v_add_f64 v[4:5], v[16:17], v[12:13]
	v_mul_lo_u32 v12, v20, 6
	v_or_b32_e32 v12, v12, v24
	v_lshl_add_u32 v12, v12, 4, 0
	ds_write_b128 v12, v[8:11]
	ds_write_b128 v12, v[4:7] offset:32
	ds_write_b128 v12, v[0:3] offset:64
.LBB0_19:
	s_or_b64 exec, exec, s[8:9]
	s_movk_i32 s2, 0xab
	v_mul_lo_u16_sdwa v4, v32, s2 dst_sel:DWORD dst_unused:UNUSED_PAD src0_sel:BYTE_0 src1_sel:DWORD
	v_lshrrev_b16_e32 v54, 10, v4
	v_mul_lo_u16_e32 v4, 6, v54
	v_sub_u16_e32 v55, v32, v4
	v_mov_b32_e32 v56, 6
	v_lshlrev_b32_sdwa v20, v56, v55 dst_sel:DWORD dst_unused:UNUSED_PAD src0_sel:DWORD src1_sel:BYTE_0
	s_waitcnt lgkmcnt(0)
	s_barrier
	global_load_dwordx4 v[4:7], v20, s[12:13] offset:64
	global_load_dwordx4 v[8:11], v20, s[12:13] offset:80
	;; [unrolled: 1-line block ×4, first 2 shown]
	v_sub_u32_e32 v57, v38, v36
	ds_read_b128 v[20:23], v57
	v_lshl_add_u32 v39, v34, 4, 0
	ds_read_b128 v[24:27], v39
	ds_read_b128 v[40:43], v37 offset:13440
	s_mov_b32 s14, 0x134454ff
	s_mov_b32 s15, 0x3fee6f0e
	;; [unrolled: 1-line block ×9, first 2 shown]
	s_movk_i32 s18, 0x89
	s_mov_b32 s9, 0x3fd3c6ef
	s_waitcnt vmcnt(3) lgkmcnt(2)
	v_mul_f64 v[44:45], v[22:23], v[6:7]
	v_mul_f64 v[6:7], v[20:21], v[6:7]
	v_fma_f64 v[20:21], v[20:21], v[4:5], -v[44:45]
	s_waitcnt vmcnt(2) lgkmcnt(1)
	v_mul_f64 v[44:45], v[26:27], v[10:11]
	v_mul_f64 v[10:11], v[24:25], v[10:11]
	v_fma_f64 v[22:23], v[22:23], v[4:5], v[6:7]
	ds_read_b128 v[4:7], v37 offset:10080
	v_fma_f64 v[24:25], v[24:25], v[8:9], -v[44:45]
	v_fma_f64 v[8:9], v[26:27], v[8:9], v[10:11]
	s_waitcnt vmcnt(1) lgkmcnt(0)
	v_mul_f64 v[10:11], v[6:7], v[14:15]
	v_mul_f64 v[14:15], v[4:5], v[14:15]
	s_waitcnt vmcnt(0)
	v_mul_f64 v[26:27], v[42:43], v[18:19]
	v_mul_f64 v[18:19], v[40:41], v[18:19]
	v_add_f64 v[50:51], v[22:23], -v[8:9]
	v_fma_f64 v[10:11], v[4:5], v[12:13], -v[10:11]
	v_fma_f64 v[12:13], v[6:7], v[12:13], v[14:15]
	ds_read_b128 v[4:7], v37
	v_fma_f64 v[14:15], v[40:41], v[16:17], -v[26:27]
	v_fma_f64 v[16:17], v[42:43], v[16:17], v[18:19]
	s_waitcnt lgkmcnt(0)
	s_barrier
	v_add_f64 v[18:19], v[4:5], v[20:21]
	v_add_f64 v[26:27], v[6:7], v[22:23]
	;; [unrolled: 1-line block ×6, first 2 shown]
	v_add_f64 v[48:49], v[14:15], -v[10:11]
	v_add_f64 v[52:53], v[16:17], -v[12:13]
	v_add_f64 v[18:19], v[18:19], v[24:25]
	v_add_f64 v[26:27], v[26:27], v[8:9]
	v_fma_f64 v[40:41], v[40:41], -0.5, v[4:5]
	v_fma_f64 v[44:45], v[44:45], -0.5, v[6:7]
	;; [unrolled: 1-line block ×4, first 2 shown]
	v_add_f64 v[4:5], v[18:19], v[10:11]
	v_add_f64 v[6:7], v[26:27], v[12:13]
	v_add_f64 v[18:19], v[20:21], -v[24:25]
	v_add_f64 v[26:27], v[24:25], -v[20:21]
	;; [unrolled: 1-line block ×5, first 2 shown]
	v_add_f64 v[4:5], v[4:5], v[14:15]
	v_add_f64 v[14:15], v[22:23], -v[16:17]
	v_add_f64 v[22:23], v[8:9], -v[22:23]
	;; [unrolled: 1-line block ×4, first 2 shown]
	v_add_f64 v[6:7], v[6:7], v[16:17]
	v_add_f64 v[16:17], v[18:19], v[48:49]
	;; [unrolled: 1-line block ×4, first 2 shown]
	v_fma_f64 v[10:11], v[14:15], s[14:15], v[40:41]
	v_fma_f64 v[40:41], v[14:15], s[16:17], v[40:41]
	v_mul_u32_u24_e32 v50, 0x1e0, v54
	v_add_f64 v[22:23], v[22:23], v[12:13]
	v_fma_f64 v[12:13], v[8:9], s[16:17], v[42:43]
	v_fma_f64 v[42:43], v[8:9], s[14:15], v[42:43]
	v_mov_b32_e32 v52, 4
	v_fma_f64 v[10:11], v[8:9], s[2:3], v[10:11]
	v_fma_f64 v[40:41], v[8:9], s[6:7], v[40:41]
	;; [unrolled: 1-line block ×10, first 2 shown]
	v_mul_lo_u16_sdwa v8, v32, s18 dst_sel:DWORD dst_unused:UNUSED_PAD src0_sel:BYTE_0 src1_sel:DWORD
	v_lshrrev_b16_e32 v53, 12, v8
	v_fma_f64 v[14:15], v[20:21], s[6:7], v[14:15]
	v_fma_f64 v[44:45], v[20:21], s[2:3], v[46:47]
	;; [unrolled: 1-line block ×5, first 2 shown]
	v_mul_lo_u16_e32 v20, 30, v53
	v_sub_u16_e32 v54, v32, v20
	v_fma_f64 v[20:21], v[18:19], s[8:9], v[42:43]
	v_fma_f64 v[14:15], v[22:23], s[8:9], v[14:15]
	;; [unrolled: 1-line block ×5, first 2 shown]
	v_lshlrev_b32_sdwa v46, v52, v55 dst_sel:DWORD dst_unused:UNUSED_PAD src0_sel:DWORD src1_sel:BYTE_0
	v_lshlrev_b32_sdwa v47, v56, v54 dst_sel:DWORD dst_unused:UNUSED_PAD src0_sel:DWORD src1_sel:BYTE_0
	v_add3_u32 v24, 0, v50, v46
	ds_write_b128 v24, v[4:7]
	ds_write_b128 v24, v[8:11] offset:96
	ds_write_b128 v24, v[12:15] offset:192
	ds_write_b128 v24, v[20:23] offset:288
	ds_write_b128 v24, v[16:19] offset:384
	s_waitcnt lgkmcnt(0)
	s_barrier
	global_load_dwordx4 v[4:7], v47, s[12:13] offset:448
	global_load_dwordx4 v[8:11], v47, s[12:13] offset:464
	;; [unrolled: 1-line block ×4, first 2 shown]
	ds_read_b128 v[20:23], v57
	ds_read_b128 v[24:27], v39
	ds_read_b128 v[40:43], v37 offset:13440
	v_lshlrev_b32_sdwa v52, v52, v54 dst_sel:DWORD dst_unused:UNUSED_PAD src0_sel:DWORD src1_sel:BYTE_0
	s_movk_i32 s18, 0x96
	s_waitcnt vmcnt(3) lgkmcnt(2)
	v_mul_f64 v[44:45], v[22:23], v[6:7]
	v_mul_f64 v[6:7], v[20:21], v[6:7]
	v_fma_f64 v[20:21], v[20:21], v[4:5], -v[44:45]
	s_waitcnt vmcnt(2) lgkmcnt(1)
	v_mul_f64 v[44:45], v[26:27], v[10:11]
	v_mul_f64 v[10:11], v[24:25], v[10:11]
	v_fma_f64 v[22:23], v[22:23], v[4:5], v[6:7]
	ds_read_b128 v[4:7], v37 offset:10080
	v_fma_f64 v[24:25], v[24:25], v[8:9], -v[44:45]
	v_fma_f64 v[8:9], v[26:27], v[8:9], v[10:11]
	s_waitcnt vmcnt(1) lgkmcnt(0)
	v_mul_f64 v[10:11], v[6:7], v[14:15]
	s_waitcnt vmcnt(0)
	v_mul_f64 v[26:27], v[42:43], v[18:19]
	v_mul_f64 v[14:15], v[4:5], v[14:15]
	;; [unrolled: 1-line block ×3, first 2 shown]
	v_add_f64 v[46:47], v[20:21], -v[24:25]
	v_fma_f64 v[10:11], v[4:5], v[12:13], -v[10:11]
	v_fma_f64 v[26:27], v[40:41], v[16:17], -v[26:27]
	v_fma_f64 v[12:13], v[6:7], v[12:13], v[14:15]
	v_fma_f64 v[14:15], v[42:43], v[16:17], v[18:19]
	ds_read_b128 v[4:7], v37
	s_waitcnt lgkmcnt(0)
	s_barrier
	v_add_f64 v[16:17], v[24:25], v[10:11]
	v_add_f64 v[18:19], v[20:21], v[26:27]
	;; [unrolled: 1-line block ×5, first 2 shown]
	v_add_f64 v[48:49], v[10:11], -v[26:27]
	v_add_f64 v[50:51], v[14:15], -v[12:13]
	v_fma_f64 v[16:17], v[16:17], -0.5, v[4:5]
	v_fma_f64 v[18:19], v[18:19], -0.5, v[4:5]
	;; [unrolled: 1-line block ×4, first 2 shown]
	v_add_f64 v[4:5], v[6:7], v[22:23]
	v_add_f64 v[6:7], v[26:27], -v[10:11]
	v_add_f64 v[4:5], v[4:5], v[8:9]
	v_add_f64 v[46:47], v[46:47], v[6:7]
	v_add_f64 v[6:7], v[24:25], -v[20:21]
	v_add_f64 v[20:21], v[20:21], -v[26:27]
	v_add_f64 v[48:49], v[6:7], v[48:49]
	v_add_f64 v[6:7], v[22:23], -v[8:9]
	v_add_f64 v[50:51], v[6:7], v[50:51]
	v_add_f64 v[6:7], v[44:45], v[24:25]
	v_add_f64 v[24:25], v[24:25], -v[10:11]
	v_add_f64 v[44:45], v[4:5], v[12:13]
	v_add_f64 v[4:5], v[12:13], -v[14:15]
	;; [unrolled: 2-line block ×3, first 2 shown]
	v_add_f64 v[8:9], v[8:9], -v[22:23]
	v_add_f64 v[12:13], v[22:23], -v[14:15]
	v_add_f64 v[22:23], v[8:9], v[4:5]
	v_fma_f64 v[8:9], v[12:13], s[14:15], v[16:17]
	v_fma_f64 v[16:17], v[12:13], s[16:17], v[16:17]
	v_add_f64 v[4:5], v[6:7], v[26:27]
	v_add_f64 v[6:7], v[44:45], v[14:15]
	v_fma_f64 v[14:15], v[10:11], s[16:17], v[18:19]
	v_fma_f64 v[18:19], v[10:11], s[14:15], v[18:19]
	;; [unrolled: 1-line block ×13, first 2 shown]
	v_mul_u32_u24_e32 v44, 0x960, v53
	v_fma_f64 v[26:27], v[20:21], s[6:7], v[16:17]
	v_fma_f64 v[42:43], v[20:21], s[2:3], v[42:43]
	;; [unrolled: 1-line block ×6, first 2 shown]
	v_add3_u32 v44, 0, v44, v52
	v_cmp_gt_u32_e64 s[2:3], s18, v32
	v_fma_f64 v[18:19], v[22:23], s[8:9], v[26:27]
	v_fma_f64 v[26:27], v[22:23], s[8:9], v[42:43]
	;; [unrolled: 1-line block ×3, first 2 shown]
	ds_write_b128 v44, v[4:7]
	ds_write_b128 v44, v[8:11] offset:480
	ds_write_b128 v44, v[16:19] offset:960
	;; [unrolled: 1-line block ×4, first 2 shown]
	s_waitcnt lgkmcnt(0)
	s_barrier
	s_waitcnt lgkmcnt(0)
                                        ; implicit-def: $vgpr14_vgpr15
	s_and_saveexec_b64 s[6:7], s[2:3]
	s_cbranch_execz .LBB0_21
; %bb.20:
	ds_read_b128 v[4:7], v37
	ds_read_b128 v[8:11], v37 offset:2400
	ds_read_b128 v[16:19], v37 offset:4800
	;; [unrolled: 1-line block ×6, first 2 shown]
.LBB0_21:
	s_or_b64 exec, exec, s[6:7]
	s_waitcnt lgkmcnt(0)
	s_barrier
	s_and_saveexec_b64 s[6:7], s[2:3]
	s_cbranch_execz .LBB0_23
; %bb.22:
	v_add_u32_e32 v40, 0xffffff6a, v32
	v_cndmask_b32_e64 v40, v40, v32, s[2:3]
	v_mul_i32_i24_e32 v40, 6, v40
	v_mov_b32_e32 v41, 0
	v_lshlrev_b64 v[40:41], 4, v[40:41]
	v_mov_b32_e32 v42, s13
	v_add_co_u32_e64 v56, s[2:3], s12, v40
	v_addc_co_u32_e64 v57, s[2:3], v42, v41, s[2:3]
	global_load_dwordx4 v[40:43], v[56:57], off offset:2400
	global_load_dwordx4 v[44:47], v[56:57], off offset:2416
	;; [unrolled: 1-line block ×4, first 2 shown]
	s_mov_b32 s14, 0xe976ee23
	s_mov_b32 s18, 0x37e14327
	;; [unrolled: 1-line block ×16, first 2 shown]
	s_waitcnt vmcnt(3)
	v_mul_f64 v[58:59], v[26:27], v[42:43]
	v_mul_f64 v[42:43], v[24:25], v[42:43]
	v_fma_f64 v[58:59], v[24:25], v[40:41], -v[58:59]
	v_fma_f64 v[40:41], v[26:27], v[40:41], v[42:43]
	s_waitcnt vmcnt(2)
	v_mul_f64 v[42:43], v[22:23], v[46:47]
	v_mul_f64 v[46:47], v[20:21], v[46:47]
	global_load_dwordx4 v[24:27], v[56:57], off offset:2368
	v_fma_f64 v[42:43], v[20:21], v[44:45], -v[42:43]
	v_fma_f64 v[44:45], v[22:23], v[44:45], v[46:47]
	global_load_dwordx4 v[20:23], v[56:57], off offset:2448
	s_waitcnt vmcnt(3)
	v_mul_f64 v[46:47], v[18:19], v[50:51]
	v_mul_f64 v[50:51], v[16:17], v[50:51]
	s_waitcnt vmcnt(2)
	v_mul_f64 v[56:57], v[2:3], v[54:55]
	v_fma_f64 v[16:17], v[16:17], v[48:49], -v[46:47]
	v_fma_f64 v[18:19], v[18:19], v[48:49], v[50:51]
	v_mul_f64 v[46:47], v[0:1], v[54:55]
	v_fma_f64 v[0:1], v[0:1], v[52:53], -v[56:57]
	v_fma_f64 v[2:3], v[2:3], v[52:53], v[46:47]
	v_add_f64 v[46:47], v[18:19], v[2:3]
	v_add_f64 v[2:3], v[18:19], -v[2:3]
	s_waitcnt vmcnt(1)
	v_mul_f64 v[48:49], v[10:11], v[26:27]
	v_mul_f64 v[26:27], v[8:9], v[26:27]
	s_waitcnt vmcnt(0)
	v_mul_f64 v[50:51], v[14:15], v[22:23]
	v_mul_f64 v[22:23], v[12:13], v[22:23]
	v_fma_f64 v[8:9], v[8:9], v[24:25], -v[48:49]
	v_fma_f64 v[10:11], v[10:11], v[24:25], v[26:27]
	v_add_f64 v[26:27], v[40:41], v[44:45]
	v_fma_f64 v[12:13], v[12:13], v[20:21], -v[50:51]
	v_fma_f64 v[14:15], v[14:15], v[20:21], v[22:23]
	v_add_f64 v[22:23], v[16:17], -v[0:1]
	v_add_f64 v[0:1], v[16:17], v[0:1]
	v_add_f64 v[20:21], v[42:43], -v[58:59]
	v_add_f64 v[42:43], v[58:59], v[42:43]
	;; [unrolled: 2-line block ×3, first 2 shown]
	v_add_f64 v[8:9], v[8:9], v[12:13]
	v_add_f64 v[12:13], v[44:45], -v[40:41]
	v_add_f64 v[10:11], v[10:11], -v[14:15]
	v_add_f64 v[14:15], v[20:21], v[22:23]
	v_add_f64 v[16:17], v[20:21], -v[22:23]
	v_add_f64 v[50:51], v[42:43], -v[0:1]
	v_add_f64 v[18:19], v[24:25], -v[20:21]
	v_add_f64 v[44:45], v[46:47], v[48:49]
	v_add_f64 v[54:55], v[0:1], v[8:9]
	v_add_f64 v[20:21], v[26:27], -v[46:47]
	v_add_f64 v[40:41], v[48:49], -v[26:27]
	;; [unrolled: 1-line block ×4, first 2 shown]
	v_add_f64 v[56:57], v[12:13], v[2:3]
	v_add_f64 v[22:23], v[22:23], -v[24:25]
	v_add_f64 v[26:27], v[26:27], v[44:45]
	v_add_f64 v[42:43], v[42:43], v[54:55]
	v_add_f64 v[46:47], v[46:47], -v[48:49]
	v_add_f64 v[48:49], v[2:3], -v[10:11]
	;; [unrolled: 1-line block ×4, first 2 shown]
	v_mul_f64 v[16:17], v[16:17], s[14:15]
	v_mul_f64 v[40:41], v[40:41], s[18:19]
	;; [unrolled: 1-line block ×4, first 2 shown]
	v_add_f64 v[2:3], v[6:7], v[26:27]
	v_add_f64 v[0:1], v[4:5], v[42:43]
	v_add_f64 v[10:11], v[56:57], v[10:11]
	v_mul_f64 v[56:57], v[22:23], s[22:23]
	v_mul_f64 v[58:59], v[48:49], s[22:23]
	v_add_f64 v[14:15], v[14:15], v[24:25]
	v_mul_f64 v[24:25], v[20:21], s[16:17]
	v_mul_f64 v[44:45], v[50:51], s[16:17]
	v_fma_f64 v[60:61], v[18:19], s[8:9], v[16:17]
	v_fma_f64 v[20:21], v[20:21], s[16:17], v[40:41]
	;; [unrolled: 1-line block ×4, first 2 shown]
	s_mov_b32 s9, 0xbfd5d0dc
	v_fma_f64 v[26:27], v[26:27], s[20:21], v[2:3]
	v_fma_f64 v[42:43], v[42:43], s[20:21], v[0:1]
	v_fma_f64 v[40:41], v[46:47], s[24:25], -v[40:41]
	v_fma_f64 v[50:51], v[8:9], s[24:25], -v[52:53]
	s_mov_b32 s25, 0x3fe77f67
	v_fma_f64 v[18:19], v[18:19], s[8:9], -v[56:57]
	v_fma_f64 v[12:13], v[12:13], s[8:9], -v[58:59]
	v_fma_f64 v[16:17], v[22:23], s[22:23], -v[16:17]
	v_fma_f64 v[22:23], v[48:49], s[22:23], -v[54:55]
	v_fma_f64 v[24:25], v[46:47], s[24:25], -v[24:25]
	v_fma_f64 v[8:9], v[8:9], s[24:25], -v[44:45]
	v_fma_f64 v[44:45], v[14:15], s[2:3], v[60:61]
	v_fma_f64 v[4:5], v[10:11], s[2:3], v[4:5]
	v_add_f64 v[20:21], v[20:21], v[26:27]
	v_add_f64 v[54:55], v[6:7], v[42:43]
	v_fma_f64 v[46:47], v[14:15], s[2:3], v[18:19]
	v_add_f64 v[40:41], v[40:41], v[26:27]
	v_fma_f64 v[52:53], v[10:11], s[2:3], v[12:13]
	;; [unrolled: 2-line block ×4, first 2 shown]
	v_add_f64 v[8:9], v[8:9], v[42:43]
	v_add_f64 v[26:27], v[20:21], -v[44:45]
	v_add_f64 v[24:25], v[4:5], v[54:55]
	v_add_f64 v[6:7], v[44:45], v[20:21]
	v_add_f64 v[22:23], v[40:41], -v[46:47]
	v_add_f64 v[20:21], v[52:53], v[50:51]
	v_add_f64 v[14:15], v[18:19], -v[16:17]
	v_add_f64 v[18:19], v[16:17], v[18:19]
	v_add_f64 v[16:17], v[8:9], -v[48:49]
	v_add_f64 v[12:13], v[48:49], v[8:9]
	v_add_f64 v[10:11], v[46:47], v[40:41]
	v_add_f64 v[8:9], v[50:51], -v[52:53]
	v_add_f64 v[4:5], v[54:55], -v[4:5]
	ds_write_b128 v37, v[0:3]
	ds_write_b128 v37, v[24:27] offset:2400
	ds_write_b128 v37, v[20:23] offset:4800
	;; [unrolled: 1-line block ×6, first 2 shown]
.LBB0_23:
	s_or_b64 exec, exec, s[6:7]
	s_waitcnt lgkmcnt(0)
	s_barrier
	ds_read_b128 v[0:3], v37
	s_add_u32 s8, s12, 0x4180
	s_addc_u32 s9, s13, 0
	v_sub_u32_e32 v8, 0, v33
	v_cmp_ne_u32_e64 s[2:3], 0, v32
                                        ; implicit-def: $vgpr6_vgpr7
                                        ; implicit-def: $vgpr4_vgpr5
	s_and_saveexec_b64 s[6:7], s[2:3]
	s_xor_b64 s[6:7], exec, s[6:7]
	s_cbranch_execz .LBB0_25
; %bb.24:
	v_mov_b32_e32 v33, 0
	v_lshlrev_b64 v[4:5], 4, v[32:33]
	v_mov_b32_e32 v6, s9
	v_add_co_u32_e64 v4, s[2:3], s8, v4
	v_addc_co_u32_e64 v5, s[2:3], v6, v5, s[2:3]
	global_load_dwordx4 v[9:12], v[4:5], off
	ds_read_b128 v[4:7], v8 offset:16800
	s_waitcnt lgkmcnt(0)
	v_add_f64 v[13:14], v[0:1], -v[4:5]
	v_add_f64 v[15:16], v[2:3], v[6:7]
	v_add_f64 v[2:3], v[2:3], -v[6:7]
	v_add_f64 v[0:1], v[0:1], v[4:5]
	v_mul_f64 v[6:7], v[13:14], 0.5
	v_mul_f64 v[13:14], v[15:16], 0.5
	;; [unrolled: 1-line block ×3, first 2 shown]
	s_waitcnt vmcnt(0)
	v_mul_f64 v[4:5], v[6:7], v[11:12]
	v_fma_f64 v[15:16], v[13:14], v[11:12], v[2:3]
	v_fma_f64 v[2:3], v[13:14], v[11:12], -v[2:3]
	v_fma_f64 v[11:12], v[0:1], 0.5, v[4:5]
	v_fma_f64 v[0:1], v[0:1], 0.5, -v[4:5]
	v_fma_f64 v[15:16], -v[9:10], v[6:7], v[15:16]
	v_fma_f64 v[2:3], -v[9:10], v[6:7], v[2:3]
	ds_write_b64 v37, v[15:16] offset:8
	ds_write_b64 v8, v[2:3] offset:16808
	v_fma_f64 v[4:5], v[13:14], v[9:10], v[11:12]
	v_fma_f64 v[6:7], -v[13:14], v[9:10], v[0:1]
                                        ; implicit-def: $vgpr0_vgpr1
.LBB0_25:
	s_or_saveexec_b64 s[2:3], s[6:7]
	v_sub_u32_e32 v9, 0, v36
	s_xor_b64 exec, exec, s[2:3]
	s_cbranch_execz .LBB0_27
; %bb.26:
	s_mov_b32 s6, 0
	s_mov_b32 s7, s6
	v_mov_b32_e32 v11, s7
	s_waitcnt lgkmcnt(0)
	v_add_f64 v[4:5], v[0:1], v[2:3]
	v_mov_b32_e32 v10, s6
	v_add_f64 v[6:7], v[0:1], -v[2:3]
	ds_write_b64 v37, v[10:11] offset:8
	ds_write_b64 v8, v[10:11] offset:16808
	v_mov_b32_e32 v2, 0
	ds_read_b64 v[0:1], v2 offset:8408
	s_waitcnt lgkmcnt(0)
	v_xor_b32_e32 v1, 0x80000000, v1
	ds_write_b64 v2, v[0:1] offset:8408
.LBB0_27:
	s_or_b64 exec, exec, s[2:3]
	v_mov_b32_e32 v36, 0
	s_waitcnt lgkmcnt(0)
	v_lshlrev_b64 v[0:1], 4, v[35:36]
	v_mov_b32_e32 v2, s9
	v_add_co_u32_e64 v0, s[2:3], s8, v0
	v_addc_co_u32_e64 v1, s[2:3], v2, v1, s[2:3]
	global_load_dwordx4 v[0:3], v[0:1], off
	ds_write_b64 v37, v[4:5]
	ds_write_b64 v8, v[6:7] offset:16800
	v_add_u32_e32 v17, v38, v9
	ds_read_b128 v[4:7], v17
	ds_read_b128 v[9:12], v8 offset:13440
	s_waitcnt lgkmcnt(0)
	v_add_f64 v[13:14], v[4:5], -v[9:10]
	v_add_f64 v[15:16], v[6:7], v[11:12]
	v_add_f64 v[6:7], v[6:7], -v[11:12]
	v_add_f64 v[4:5], v[4:5], v[9:10]
	v_mul_f64 v[11:12], v[13:14], 0.5
	v_mul_f64 v[13:14], v[15:16], 0.5
	;; [unrolled: 1-line block ×3, first 2 shown]
	s_waitcnt vmcnt(0)
	v_mul_f64 v[9:10], v[11:12], v[2:3]
	v_fma_f64 v[15:16], v[13:14], v[2:3], v[6:7]
	v_fma_f64 v[2:3], v[13:14], v[2:3], -v[6:7]
	v_fma_f64 v[6:7], v[4:5], 0.5, v[9:10]
	v_fma_f64 v[9:10], v[4:5], 0.5, -v[9:10]
	v_fma_f64 v[4:5], -v[0:1], v[11:12], v[15:16]
	v_fma_f64 v[11:12], -v[0:1], v[11:12], v[2:3]
	v_fma_f64 v[2:3], v[13:14], v[0:1], v[6:7]
	v_fma_f64 v[9:10], -v[13:14], v[0:1], v[9:10]
	ds_write_b128 v17, v[2:5]
	ds_write_b128 v8, v[9:12] offset:13440
	s_and_saveexec_b64 s[2:3], vcc
	s_cbranch_execz .LBB0_29
; %bb.28:
	v_mov_b32_e32 v35, v36
	v_lshlrev_b64 v[0:1], 4, v[34:35]
	v_mov_b32_e32 v2, s9
	v_add_co_u32_e32 v0, vcc, s8, v0
	v_addc_co_u32_e32 v1, vcc, v2, v1, vcc
	global_load_dwordx4 v[0:3], v[0:1], off
	ds_read_b128 v[4:7], v39
	ds_read_b128 v[9:12], v8 offset:10080
	s_waitcnt lgkmcnt(0)
	v_add_f64 v[13:14], v[4:5], -v[9:10]
	v_add_f64 v[15:16], v[6:7], v[11:12]
	v_add_f64 v[6:7], v[6:7], -v[11:12]
	v_add_f64 v[4:5], v[4:5], v[9:10]
	v_mul_f64 v[11:12], v[13:14], 0.5
	v_mul_f64 v[13:14], v[15:16], 0.5
	;; [unrolled: 1-line block ×3, first 2 shown]
	s_waitcnt vmcnt(0)
	v_mul_f64 v[9:10], v[11:12], v[2:3]
	v_fma_f64 v[15:16], v[13:14], v[2:3], v[6:7]
	v_fma_f64 v[2:3], v[13:14], v[2:3], -v[6:7]
	v_fma_f64 v[6:7], v[4:5], 0.5, v[9:10]
	v_fma_f64 v[9:10], v[4:5], 0.5, -v[9:10]
	v_fma_f64 v[4:5], -v[0:1], v[11:12], v[15:16]
	v_fma_f64 v[11:12], -v[0:1], v[11:12], v[2:3]
	v_fma_f64 v[2:3], v[13:14], v[0:1], v[6:7]
	v_fma_f64 v[9:10], -v[13:14], v[0:1], v[9:10]
	ds_write_b128 v39, v[2:5]
	ds_write_b128 v8, v[9:12] offset:10080
.LBB0_29:
	s_or_b64 exec, exec, s[2:3]
	s_waitcnt lgkmcnt(0)
	s_barrier
	s_and_saveexec_b64 s[2:3], s[0:1]
	s_cbranch_execz .LBB0_32
; %bb.30:
	v_mul_lo_u32 v2, s5, v30
	v_mul_lo_u32 v3, s4, v31
	v_mad_u64_u32 v[0:1], s[0:1], s4, v30, 0
	v_mov_b32_e32 v6, s11
	v_lshl_add_u32 v12, v32, 4, 0
	v_add3_u32 v1, v1, v3, v2
	v_lshlrev_b64 v[0:1], 4, v[0:1]
	v_mov_b32_e32 v33, 0
	v_add_co_u32_e32 v0, vcc, s10, v0
	v_addc_co_u32_e32 v8, vcc, v6, v1, vcc
	v_lshlrev_b64 v[6:7], 4, v[28:29]
	ds_read_b128 v[2:5], v12
	v_add_co_u32_e32 v1, vcc, v0, v6
	v_addc_co_u32_e32 v0, vcc, v8, v7, vcc
	v_lshlrev_b64 v[6:7], 4, v[32:33]
	s_movk_i32 s0, 0xd1
	v_add_co_u32_e32 v10, vcc, v1, v6
	v_addc_co_u32_e32 v11, vcc, v0, v7, vcc
	ds_read_b128 v[6:9], v12 offset:3360
	s_waitcnt lgkmcnt(1)
	global_store_dwordx4 v[10:11], v[2:5], off
	s_nop 0
	v_add_u32_e32 v2, 0xd2, v32
	v_mov_b32_e32 v3, v33
	v_lshlrev_b64 v[2:3], 4, v[2:3]
	v_add_co_u32_e32 v2, vcc, v1, v2
	v_addc_co_u32_e32 v3, vcc, v0, v3, vcc
	s_waitcnt lgkmcnt(0)
	global_store_dwordx4 v[2:3], v[6:9], off
	ds_read_b128 v[2:5], v12 offset:6720
	v_add_u32_e32 v6, 0x1a4, v32
	v_mov_b32_e32 v7, v33
	v_lshlrev_b64 v[6:7], 4, v[6:7]
	v_add_co_u32_e32 v10, vcc, v1, v6
	v_addc_co_u32_e32 v11, vcc, v0, v7, vcc
	ds_read_b128 v[6:9], v12 offset:10080
	s_waitcnt lgkmcnt(1)
	global_store_dwordx4 v[10:11], v[2:5], off
	s_nop 0
	v_add_u32_e32 v2, 0x276, v32
	v_mov_b32_e32 v3, v33
	v_lshlrev_b64 v[2:3], 4, v[2:3]
	v_add_co_u32_e32 v2, vcc, v1, v2
	v_addc_co_u32_e32 v3, vcc, v0, v3, vcc
	s_waitcnt lgkmcnt(0)
	global_store_dwordx4 v[2:3], v[6:9], off
	ds_read_b128 v[2:5], v12 offset:13440
	v_add_u32_e32 v6, 0x348, v32
	v_mov_b32_e32 v7, v33
	v_lshlrev_b64 v[6:7], 4, v[6:7]
	v_add_co_u32_e32 v6, vcc, v1, v6
	v_addc_co_u32_e32 v7, vcc, v0, v7, vcc
	v_cmp_eq_u32_e32 vcc, s0, v32
	s_waitcnt lgkmcnt(0)
	global_store_dwordx4 v[6:7], v[2:5], off
	s_and_b64 exec, exec, vcc
	s_cbranch_execz .LBB0_32
; %bb.31:
	ds_read_b128 v[2:5], v33 offset:16800
	v_add_co_u32_e32 v6, vcc, 0x4000, v1
	v_addc_co_u32_e32 v7, vcc, 0, v0, vcc
	s_waitcnt lgkmcnt(0)
	global_store_dwordx4 v[6:7], v[2:5], off offset:416
.LBB0_32:
	s_endpgm
	.section	.rodata,"a",@progbits
	.p2align	6, 0x0
	.amdhsa_kernel fft_rtc_fwd_len1050_factors_2_3_5_5_7_wgs_210_tpt_210_dp_op_CI_CI_unitstride_sbrr_R2C_dirReg
		.amdhsa_group_segment_fixed_size 0
		.amdhsa_private_segment_fixed_size 0
		.amdhsa_kernarg_size 104
		.amdhsa_user_sgpr_count 6
		.amdhsa_user_sgpr_private_segment_buffer 1
		.amdhsa_user_sgpr_dispatch_ptr 0
		.amdhsa_user_sgpr_queue_ptr 0
		.amdhsa_user_sgpr_kernarg_segment_ptr 1
		.amdhsa_user_sgpr_dispatch_id 0
		.amdhsa_user_sgpr_flat_scratch_init 0
		.amdhsa_user_sgpr_private_segment_size 0
		.amdhsa_uses_dynamic_stack 0
		.amdhsa_system_sgpr_private_segment_wavefront_offset 0
		.amdhsa_system_sgpr_workgroup_id_x 1
		.amdhsa_system_sgpr_workgroup_id_y 0
		.amdhsa_system_sgpr_workgroup_id_z 0
		.amdhsa_system_sgpr_workgroup_info 0
		.amdhsa_system_vgpr_workitem_id 0
		.amdhsa_next_free_vgpr 62
		.amdhsa_next_free_sgpr 28
		.amdhsa_reserve_vcc 1
		.amdhsa_reserve_flat_scratch 0
		.amdhsa_float_round_mode_32 0
		.amdhsa_float_round_mode_16_64 0
		.amdhsa_float_denorm_mode_32 3
		.amdhsa_float_denorm_mode_16_64 3
		.amdhsa_dx10_clamp 1
		.amdhsa_ieee_mode 1
		.amdhsa_fp16_overflow 0
		.amdhsa_exception_fp_ieee_invalid_op 0
		.amdhsa_exception_fp_denorm_src 0
		.amdhsa_exception_fp_ieee_div_zero 0
		.amdhsa_exception_fp_ieee_overflow 0
		.amdhsa_exception_fp_ieee_underflow 0
		.amdhsa_exception_fp_ieee_inexact 0
		.amdhsa_exception_int_div_zero 0
	.end_amdhsa_kernel
	.text
.Lfunc_end0:
	.size	fft_rtc_fwd_len1050_factors_2_3_5_5_7_wgs_210_tpt_210_dp_op_CI_CI_unitstride_sbrr_R2C_dirReg, .Lfunc_end0-fft_rtc_fwd_len1050_factors_2_3_5_5_7_wgs_210_tpt_210_dp_op_CI_CI_unitstride_sbrr_R2C_dirReg
                                        ; -- End function
	.section	.AMDGPU.csdata,"",@progbits
; Kernel info:
; codeLenInByte = 6452
; NumSgprs: 32
; NumVgprs: 62
; ScratchSize: 0
; MemoryBound: 0
; FloatMode: 240
; IeeeMode: 1
; LDSByteSize: 0 bytes/workgroup (compile time only)
; SGPRBlocks: 3
; VGPRBlocks: 15
; NumSGPRsForWavesPerEU: 32
; NumVGPRsForWavesPerEU: 62
; Occupancy: 4
; WaveLimiterHint : 1
; COMPUTE_PGM_RSRC2:SCRATCH_EN: 0
; COMPUTE_PGM_RSRC2:USER_SGPR: 6
; COMPUTE_PGM_RSRC2:TRAP_HANDLER: 0
; COMPUTE_PGM_RSRC2:TGID_X_EN: 1
; COMPUTE_PGM_RSRC2:TGID_Y_EN: 0
; COMPUTE_PGM_RSRC2:TGID_Z_EN: 0
; COMPUTE_PGM_RSRC2:TIDIG_COMP_CNT: 0
	.type	__hip_cuid_fde5f09ed29ddc2c,@object ; @__hip_cuid_fde5f09ed29ddc2c
	.section	.bss,"aw",@nobits
	.globl	__hip_cuid_fde5f09ed29ddc2c
__hip_cuid_fde5f09ed29ddc2c:
	.byte	0                               ; 0x0
	.size	__hip_cuid_fde5f09ed29ddc2c, 1

	.ident	"AMD clang version 19.0.0git (https://github.com/RadeonOpenCompute/llvm-project roc-6.4.0 25133 c7fe45cf4b819c5991fe208aaa96edf142730f1d)"
	.section	".note.GNU-stack","",@progbits
	.addrsig
	.addrsig_sym __hip_cuid_fde5f09ed29ddc2c
	.amdgpu_metadata
---
amdhsa.kernels:
  - .args:
      - .actual_access:  read_only
        .address_space:  global
        .offset:         0
        .size:           8
        .value_kind:     global_buffer
      - .offset:         8
        .size:           8
        .value_kind:     by_value
      - .actual_access:  read_only
        .address_space:  global
        .offset:         16
        .size:           8
        .value_kind:     global_buffer
      - .actual_access:  read_only
        .address_space:  global
        .offset:         24
        .size:           8
        .value_kind:     global_buffer
      - .actual_access:  read_only
        .address_space:  global
        .offset:         32
        .size:           8
        .value_kind:     global_buffer
      - .offset:         40
        .size:           8
        .value_kind:     by_value
      - .actual_access:  read_only
        .address_space:  global
        .offset:         48
        .size:           8
        .value_kind:     global_buffer
      - .actual_access:  read_only
        .address_space:  global
        .offset:         56
        .size:           8
        .value_kind:     global_buffer
      - .offset:         64
        .size:           4
        .value_kind:     by_value
      - .actual_access:  read_only
        .address_space:  global
        .offset:         72
        .size:           8
        .value_kind:     global_buffer
      - .actual_access:  read_only
        .address_space:  global
        .offset:         80
        .size:           8
        .value_kind:     global_buffer
      - .actual_access:  read_only
        .address_space:  global
        .offset:         88
        .size:           8
        .value_kind:     global_buffer
      - .actual_access:  write_only
        .address_space:  global
        .offset:         96
        .size:           8
        .value_kind:     global_buffer
    .group_segment_fixed_size: 0
    .kernarg_segment_align: 8
    .kernarg_segment_size: 104
    .language:       OpenCL C
    .language_version:
      - 2
      - 0
    .max_flat_workgroup_size: 210
    .name:           fft_rtc_fwd_len1050_factors_2_3_5_5_7_wgs_210_tpt_210_dp_op_CI_CI_unitstride_sbrr_R2C_dirReg
    .private_segment_fixed_size: 0
    .sgpr_count:     32
    .sgpr_spill_count: 0
    .symbol:         fft_rtc_fwd_len1050_factors_2_3_5_5_7_wgs_210_tpt_210_dp_op_CI_CI_unitstride_sbrr_R2C_dirReg.kd
    .uniform_work_group_size: 1
    .uses_dynamic_stack: false
    .vgpr_count:     62
    .vgpr_spill_count: 0
    .wavefront_size: 64
amdhsa.target:   amdgcn-amd-amdhsa--gfx906
amdhsa.version:
  - 1
  - 2
...

	.end_amdgpu_metadata
